;; amdgpu-corpus repo=ROCm/rocFFT kind=compiled arch=gfx1030 opt=O3
	.text
	.amdgcn_target "amdgcn-amd-amdhsa--gfx1030"
	.amdhsa_code_object_version 6
	.protected	fft_rtc_back_len600_factors_10_6_10_wgs_60_tpt_60_halfLds_sp_ip_CI_unitstride_sbrr_dirReg ; -- Begin function fft_rtc_back_len600_factors_10_6_10_wgs_60_tpt_60_halfLds_sp_ip_CI_unitstride_sbrr_dirReg
	.globl	fft_rtc_back_len600_factors_10_6_10_wgs_60_tpt_60_halfLds_sp_ip_CI_unitstride_sbrr_dirReg
	.p2align	8
	.type	fft_rtc_back_len600_factors_10_6_10_wgs_60_tpt_60_halfLds_sp_ip_CI_unitstride_sbrr_dirReg,@function
fft_rtc_back_len600_factors_10_6_10_wgs_60_tpt_60_halfLds_sp_ip_CI_unitstride_sbrr_dirReg: ; @fft_rtc_back_len600_factors_10_6_10_wgs_60_tpt_60_halfLds_sp_ip_CI_unitstride_sbrr_dirReg
; %bb.0:
	s_clause 0x2
	s_load_dwordx4 s[8:11], s[4:5], 0x0
	s_load_dwordx2 s[2:3], s[4:5], 0x50
	s_load_dwordx2 s[12:13], s[4:5], 0x18
	v_mul_u32_u24_e32 v1, 0x445, v0
	v_mov_b32_e32 v3, 0
	v_add_nc_u32_sdwa v5, s6, v1 dst_sel:DWORD dst_unused:UNUSED_PAD src0_sel:DWORD src1_sel:WORD_1
	v_mov_b32_e32 v1, 0
	v_mov_b32_e32 v6, v3
	v_mov_b32_e32 v2, 0
	s_waitcnt lgkmcnt(0)
	v_cmp_lt_u64_e64 s0, s[10:11], 2
	s_and_b32 vcc_lo, exec_lo, s0
	s_cbranch_vccnz .LBB0_8
; %bb.1:
	s_load_dwordx2 s[0:1], s[4:5], 0x10
	v_mov_b32_e32 v1, 0
	s_add_u32 s6, s12, 8
	v_mov_b32_e32 v2, 0
	s_addc_u32 s7, s13, 0
	s_mov_b64 s[16:17], 1
	s_waitcnt lgkmcnt(0)
	s_add_u32 s14, s0, 8
	s_addc_u32 s15, s1, 0
.LBB0_2:                                ; =>This Inner Loop Header: Depth=1
	s_load_dwordx2 s[18:19], s[14:15], 0x0
                                        ; implicit-def: $vgpr7_vgpr8
	s_mov_b32 s0, exec_lo
	s_waitcnt lgkmcnt(0)
	v_or_b32_e32 v4, s19, v6
	v_cmpx_ne_u64_e32 0, v[3:4]
	s_xor_b32 s1, exec_lo, s0
	s_cbranch_execz .LBB0_4
; %bb.3:                                ;   in Loop: Header=BB0_2 Depth=1
	v_cvt_f32_u32_e32 v4, s18
	v_cvt_f32_u32_e32 v7, s19
	s_sub_u32 s0, 0, s18
	s_subb_u32 s20, 0, s19
	v_fmac_f32_e32 v4, 0x4f800000, v7
	v_rcp_f32_e32 v4, v4
	v_mul_f32_e32 v4, 0x5f7ffffc, v4
	v_mul_f32_e32 v7, 0x2f800000, v4
	v_trunc_f32_e32 v7, v7
	v_fmac_f32_e32 v4, 0xcf800000, v7
	v_cvt_u32_f32_e32 v7, v7
	v_cvt_u32_f32_e32 v4, v4
	v_mul_lo_u32 v8, s0, v7
	v_mul_hi_u32 v9, s0, v4
	v_mul_lo_u32 v10, s20, v4
	v_add_nc_u32_e32 v8, v9, v8
	v_mul_lo_u32 v9, s0, v4
	v_add_nc_u32_e32 v8, v8, v10
	v_mul_hi_u32 v10, v4, v9
	v_mul_lo_u32 v11, v4, v8
	v_mul_hi_u32 v12, v4, v8
	v_mul_hi_u32 v13, v7, v9
	v_mul_lo_u32 v9, v7, v9
	v_mul_hi_u32 v14, v7, v8
	v_mul_lo_u32 v8, v7, v8
	v_add_co_u32 v10, vcc_lo, v10, v11
	v_add_co_ci_u32_e32 v11, vcc_lo, 0, v12, vcc_lo
	v_add_co_u32 v9, vcc_lo, v10, v9
	v_add_co_ci_u32_e32 v9, vcc_lo, v11, v13, vcc_lo
	v_add_co_ci_u32_e32 v10, vcc_lo, 0, v14, vcc_lo
	v_add_co_u32 v8, vcc_lo, v9, v8
	v_add_co_ci_u32_e32 v9, vcc_lo, 0, v10, vcc_lo
	v_add_co_u32 v4, vcc_lo, v4, v8
	v_add_co_ci_u32_e32 v7, vcc_lo, v7, v9, vcc_lo
	v_mul_hi_u32 v8, s0, v4
	v_mul_lo_u32 v10, s20, v4
	v_mul_lo_u32 v9, s0, v7
	v_add_nc_u32_e32 v8, v8, v9
	v_mul_lo_u32 v9, s0, v4
	v_add_nc_u32_e32 v8, v8, v10
	v_mul_hi_u32 v10, v4, v9
	v_mul_lo_u32 v11, v4, v8
	v_mul_hi_u32 v12, v4, v8
	v_mul_hi_u32 v13, v7, v9
	v_mul_lo_u32 v9, v7, v9
	v_mul_hi_u32 v14, v7, v8
	v_mul_lo_u32 v8, v7, v8
	v_add_co_u32 v10, vcc_lo, v10, v11
	v_add_co_ci_u32_e32 v11, vcc_lo, 0, v12, vcc_lo
	v_add_co_u32 v9, vcc_lo, v10, v9
	v_add_co_ci_u32_e32 v9, vcc_lo, v11, v13, vcc_lo
	v_add_co_ci_u32_e32 v10, vcc_lo, 0, v14, vcc_lo
	v_add_co_u32 v8, vcc_lo, v9, v8
	v_add_co_ci_u32_e32 v9, vcc_lo, 0, v10, vcc_lo
	v_add_co_u32 v4, vcc_lo, v4, v8
	v_add_co_ci_u32_e32 v11, vcc_lo, v7, v9, vcc_lo
	v_mul_hi_u32 v13, v5, v4
	v_mad_u64_u32 v[9:10], null, v6, v4, 0
	v_mad_u64_u32 v[7:8], null, v5, v11, 0
	;; [unrolled: 1-line block ×3, first 2 shown]
	v_add_co_u32 v4, vcc_lo, v13, v7
	v_add_co_ci_u32_e32 v7, vcc_lo, 0, v8, vcc_lo
	v_add_co_u32 v4, vcc_lo, v4, v9
	v_add_co_ci_u32_e32 v4, vcc_lo, v7, v10, vcc_lo
	v_add_co_ci_u32_e32 v7, vcc_lo, 0, v12, vcc_lo
	v_add_co_u32 v4, vcc_lo, v4, v11
	v_add_co_ci_u32_e32 v9, vcc_lo, 0, v7, vcc_lo
	v_mul_lo_u32 v10, s19, v4
	v_mad_u64_u32 v[7:8], null, s18, v4, 0
	v_mul_lo_u32 v11, s18, v9
	v_sub_co_u32 v7, vcc_lo, v5, v7
	v_add3_u32 v8, v8, v11, v10
	v_sub_nc_u32_e32 v10, v6, v8
	v_subrev_co_ci_u32_e64 v10, s0, s19, v10, vcc_lo
	v_add_co_u32 v11, s0, v4, 2
	v_add_co_ci_u32_e64 v12, s0, 0, v9, s0
	v_sub_co_u32 v13, s0, v7, s18
	v_sub_co_ci_u32_e32 v8, vcc_lo, v6, v8, vcc_lo
	v_subrev_co_ci_u32_e64 v10, s0, 0, v10, s0
	v_cmp_le_u32_e32 vcc_lo, s18, v13
	v_cmp_eq_u32_e64 s0, s19, v8
	v_cndmask_b32_e64 v13, 0, -1, vcc_lo
	v_cmp_le_u32_e32 vcc_lo, s19, v10
	v_cndmask_b32_e64 v14, 0, -1, vcc_lo
	v_cmp_le_u32_e32 vcc_lo, s18, v7
	;; [unrolled: 2-line block ×3, first 2 shown]
	v_cndmask_b32_e64 v15, 0, -1, vcc_lo
	v_cmp_eq_u32_e32 vcc_lo, s19, v10
	v_cndmask_b32_e64 v7, v15, v7, s0
	v_cndmask_b32_e32 v10, v14, v13, vcc_lo
	v_add_co_u32 v13, vcc_lo, v4, 1
	v_add_co_ci_u32_e32 v14, vcc_lo, 0, v9, vcc_lo
	v_cmp_ne_u32_e32 vcc_lo, 0, v10
	v_cndmask_b32_e32 v8, v14, v12, vcc_lo
	v_cndmask_b32_e32 v10, v13, v11, vcc_lo
	v_cmp_ne_u32_e32 vcc_lo, 0, v7
	v_cndmask_b32_e32 v8, v9, v8, vcc_lo
	v_cndmask_b32_e32 v7, v4, v10, vcc_lo
.LBB0_4:                                ;   in Loop: Header=BB0_2 Depth=1
	s_andn2_saveexec_b32 s0, s1
	s_cbranch_execz .LBB0_6
; %bb.5:                                ;   in Loop: Header=BB0_2 Depth=1
	v_cvt_f32_u32_e32 v4, s18
	s_sub_i32 s1, 0, s18
	v_rcp_iflag_f32_e32 v4, v4
	v_mul_f32_e32 v4, 0x4f7ffffe, v4
	v_cvt_u32_f32_e32 v4, v4
	v_mul_lo_u32 v7, s1, v4
	v_mul_hi_u32 v7, v4, v7
	v_add_nc_u32_e32 v4, v4, v7
	v_mul_hi_u32 v4, v5, v4
	v_mul_lo_u32 v7, v4, s18
	v_add_nc_u32_e32 v8, 1, v4
	v_sub_nc_u32_e32 v7, v5, v7
	v_subrev_nc_u32_e32 v9, s18, v7
	v_cmp_le_u32_e32 vcc_lo, s18, v7
	v_cndmask_b32_e32 v7, v7, v9, vcc_lo
	v_cndmask_b32_e32 v4, v4, v8, vcc_lo
	v_cmp_le_u32_e32 vcc_lo, s18, v7
	v_add_nc_u32_e32 v8, 1, v4
	v_cndmask_b32_e32 v7, v4, v8, vcc_lo
	v_mov_b32_e32 v8, v3
.LBB0_6:                                ;   in Loop: Header=BB0_2 Depth=1
	s_or_b32 exec_lo, exec_lo, s0
	s_load_dwordx2 s[0:1], s[6:7], 0x0
	v_mul_lo_u32 v4, v8, s18
	v_mul_lo_u32 v11, v7, s19
	v_mad_u64_u32 v[9:10], null, v7, s18, 0
	s_add_u32 s16, s16, 1
	s_addc_u32 s17, s17, 0
	s_add_u32 s6, s6, 8
	s_addc_u32 s7, s7, 0
	;; [unrolled: 2-line block ×3, first 2 shown]
	v_add3_u32 v4, v10, v11, v4
	v_sub_co_u32 v5, vcc_lo, v5, v9
	v_sub_co_ci_u32_e32 v4, vcc_lo, v6, v4, vcc_lo
	s_waitcnt lgkmcnt(0)
	v_mul_lo_u32 v6, s1, v5
	v_mul_lo_u32 v4, s0, v4
	v_mad_u64_u32 v[1:2], null, s0, v5, v[1:2]
	v_cmp_ge_u64_e64 s0, s[16:17], s[10:11]
	s_and_b32 vcc_lo, exec_lo, s0
	v_add3_u32 v2, v6, v2, v4
	s_cbranch_vccnz .LBB0_9
; %bb.7:                                ;   in Loop: Header=BB0_2 Depth=1
	v_mov_b32_e32 v5, v7
	v_mov_b32_e32 v6, v8
	s_branch .LBB0_2
.LBB0_8:
	v_mov_b32_e32 v8, v6
	v_mov_b32_e32 v7, v5
.LBB0_9:
	s_lshl_b64 s[0:1], s[10:11], 3
	v_mul_hi_u32 v5, 0x4444445, v0
	s_add_u32 s0, s12, s0
	s_addc_u32 s1, s13, s1
                                        ; implicit-def: $vgpr14
                                        ; implicit-def: $vgpr26
                                        ; implicit-def: $vgpr18
                                        ; implicit-def: $vgpr28
                                        ; implicit-def: $vgpr22
                                        ; implicit-def: $vgpr30
                                        ; implicit-def: $vgpr16
                                        ; implicit-def: $vgpr20
                                        ; implicit-def: $vgpr11
                                        ; implicit-def: $vgpr9
	s_load_dwordx2 s[0:1], s[0:1], 0x0
	s_load_dwordx2 s[4:5], s[4:5], 0x20
	v_mul_u32_u24_e32 v5, 60, v5
	v_sub_nc_u32_e32 v5, v0, v5
	s_waitcnt lgkmcnt(0)
	v_mul_lo_u32 v3, s0, v8
	v_mul_lo_u32 v4, s1, v7
	v_mad_u64_u32 v[1:2], null, s0, v7, v[1:2]
	v_cmp_gt_u64_e32 vcc_lo, s[4:5], v[7:8]
	v_add3_u32 v2, v4, v2, v3
	v_mov_b32_e32 v3, 0
	v_mov_b32_e32 v4, 0
	v_lshlrev_b64 v[1:2], 3, v[1:2]
	s_and_saveexec_b32 s1, vcc_lo
	s_cbranch_execz .LBB0_11
; %bb.10:
	v_mov_b32_e32 v6, 0
	v_add_co_u32 v0, s0, s2, v1
	v_add_co_ci_u32_e64 v7, s0, s3, v2, s0
	v_lshlrev_b64 v[3:4], 3, v[5:6]
	v_add_co_u32 v3, s0, v0, v3
	v_add_co_ci_u32_e64 v4, s0, v7, v4, s0
	s_clause 0x3
	global_load_dwordx2 v[8:9], v[3:4], off
	global_load_dwordx2 v[10:11], v[3:4], off offset:480
	global_load_dwordx2 v[19:20], v[3:4], off offset:960
	;; [unrolled: 1-line block ×3, first 2 shown]
	v_add_co_u32 v12, s0, 0x800, v3
	v_add_co_ci_u32_e64 v13, s0, 0, v4, s0
	v_add_co_u32 v23, s0, 0x1000, v3
	v_add_co_ci_u32_e64 v24, s0, 0, v4, s0
	s_clause 0x5
	global_load_dwordx2 v[29:30], v[3:4], off offset:1920
	global_load_dwordx2 v[21:22], v[12:13], off offset:352
	global_load_dwordx2 v[27:28], v[12:13], off offset:832
	global_load_dwordx2 v[17:18], v[12:13], off offset:1312
	global_load_dwordx2 v[25:26], v[12:13], off offset:1792
	global_load_dwordx2 v[13:14], v[23:24], off offset:224
	v_mov_b32_e32 v3, v5
	v_mov_b32_e32 v4, v6
.LBB0_11:
	s_or_b32 exec_lo, exec_lo, s1
	s_waitcnt vmcnt(3)
	v_add_f32_e32 v0, v27, v29
	s_waitcnt vmcnt(1)
	v_sub_f32_e32 v7, v20, v26
	v_add_f32_e32 v31, v25, v19
	v_sub_f32_e32 v32, v29, v19
	v_sub_f32_e32 v33, v27, v25
	v_fma_f32 v0, -0.5, v0, v8
	v_add_f32_e32 v6, v19, v8
	v_sub_f32_e32 v12, v30, v28
	v_sub_f32_e32 v23, v19, v29
	;; [unrolled: 1-line block ×3, first 2 shown]
	v_fmamk_f32 v35, v7, 0xbf737871, v0
	v_fmac_f32_e32 v8, -0.5, v31
	v_fmac_f32_e32 v0, 0x3f737871, v7
	v_add_f32_e32 v32, v33, v32
	v_add_f32_e32 v33, v15, v10
	;; [unrolled: 1-line block ×3, first 2 shown]
	v_fmac_f32_e32 v35, 0xbf167918, v12
	v_fmamk_f32 v24, v12, 0x3f737871, v8
	v_add_f32_e32 v31, v17, v21
	v_fmac_f32_e32 v0, 0x3f167918, v12
	v_fmac_f32_e32 v8, 0xbf737871, v12
	v_add_f32_e32 v12, v21, v33
	v_fmac_f32_e32 v24, 0xbf167918, v7
	v_fma_f32 v37, -0.5, v31, v10
	s_waitcnt vmcnt(0)
	v_sub_f32_e32 v31, v16, v14
	v_fmac_f32_e32 v8, 0x3f167918, v7
	v_add_f32_e32 v7, v17, v12
	v_add_f32_e32 v12, v13, v15
	v_fmac_f32_e32 v35, 0x3e9e377a, v23
	v_fmac_f32_e32 v0, 0x3e9e377a, v23
	v_fmamk_f32 v38, v31, 0xbf737871, v37
	v_sub_f32_e32 v23, v22, v18
	v_sub_f32_e32 v33, v15, v21
	;; [unrolled: 1-line block ×3, first 2 shown]
	v_fmac_f32_e32 v37, 0x3f737871, v31
	v_fmac_f32_e32 v10, -0.5, v12
	v_add_f32_e32 v12, v18, v22
	v_fmac_f32_e32 v38, 0xbf167918, v23
	v_add_f32_e32 v33, v34, v33
	v_add_f32_e32 v7, v13, v7
	v_fmac_f32_e32 v37, 0x3f167918, v23
	v_sub_f32_e32 v34, v17, v13
	v_fma_f32 v39, -0.5, v12, v11
	v_sub_f32_e32 v12, v15, v13
	v_add_f32_e32 v13, v14, v16
	v_fmac_f32_e32 v24, 0x3e9e377a, v32
	v_fmac_f32_e32 v8, 0x3e9e377a, v32
	;; [unrolled: 1-line block ×3, first 2 shown]
	v_sub_f32_e32 v32, v21, v15
	v_fmac_f32_e32 v37, 0x3e9e377a, v33
	v_sub_f32_e32 v33, v21, v17
	v_fma_f32 v21, -0.5, v13, v11
	v_fmamk_f32 v15, v12, 0x3f737871, v39
	v_add_f32_e32 v32, v34, v32
	v_sub_f32_e32 v13, v16, v22
	v_sub_f32_e32 v34, v14, v18
	v_fmamk_f32 v17, v33, 0xbf737871, v21
	v_sub_f32_e32 v36, v22, v16
	v_sub_f32_e32 v41, v18, v14
	v_fmac_f32_e32 v39, 0xbf737871, v12
	v_fmac_f32_e32 v21, 0x3f737871, v33
	v_fmamk_f32 v40, v23, 0x3f737871, v10
	v_add_f32_e32 v13, v34, v13
	v_fmac_f32_e32 v17, 0x3f167918, v12
	v_add_f32_e32 v34, v41, v36
	v_fmac_f32_e32 v39, 0xbf167918, v33
	v_fmac_f32_e32 v15, 0x3f167918, v33
	;; [unrolled: 1-line block ×4, first 2 shown]
	v_add_f32_e32 v6, v29, v6
	v_fmac_f32_e32 v40, 0xbf167918, v31
	v_fmac_f32_e32 v17, 0x3e9e377a, v34
	;; [unrolled: 1-line block ×6, first 2 shown]
	v_add_f32_e32 v6, v27, v6
	v_fmac_f32_e32 v40, 0x3e9e377a, v32
	v_mul_f32_e32 v36, 0xbf737871, v17
	v_mul_f32_e32 v31, 0xbf167918, v39
	v_mul_u32_u24_e32 v41, 10, v5
	v_mul_f32_e32 v23, 0xbf167918, v15
	v_fmac_f32_e32 v10, 0x3e9e377a, v32
	v_mul_f32_e32 v13, 0xbf737871, v21
	v_add_f32_e32 v6, v25, v6
	v_fmac_f32_e32 v36, 0x3e9e377a, v40
	v_fmamk_f32 v43, v37, 0xbf4f1bbd, v31
	v_lshl_add_u32 v41, v41, 2, 0
	v_fmac_f32_e32 v23, 0x3f4f1bbd, v38
	v_fmamk_f32 v42, v10, 0xbe9e377a, v13
	v_add_f32_e32 v12, v7, v6
	v_add_f32_e32 v31, v24, v36
	;; [unrolled: 1-line block ×3, first 2 shown]
	v_sub_f32_e32 v34, v6, v7
	v_sub_f32_e32 v7, v24, v36
	;; [unrolled: 1-line block ×3, first 2 shown]
	v_mad_i32_i24 v0, 0xffffffdc, v5, v41
	v_add_f32_e32 v13, v35, v23
	v_add_f32_e32 v32, v8, v42
	v_sub_f32_e32 v6, v35, v23
	v_sub_f32_e32 v23, v8, v42
	v_add_nc_u32_e32 v8, 0x200, v0
	ds_write2_b64 v41, v[12:13], v[31:32] offset1:1
	ds_write2_b64 v41, v[33:34], v[6:7] offset0:2 offset1:3
	ds_write_b64 v41, v[23:24] offset:32
	v_add_nc_u32_e32 v31, 0x400, v0
	s_waitcnt lgkmcnt(0)
	s_barrier
	buffer_gl0_inv
	ds_read2_b32 v[12:13], v0 offset1:100
	ds_read2_b32 v[35:36], v8 offset0:72 offset1:172
	ds_read2_b32 v[33:34], v31 offset0:144 offset1:244
	v_mul_i32_i24_e32 v0, 0xffffffdc, v5
	v_cmp_gt_u32_e64 s0, 40, v5
                                        ; implicit-def: $vgpr32
	v_add_nc_u32_e32 v0, v41, v0
	s_and_saveexec_b32 s1, s0
	s_cbranch_execz .LBB0_13
; %bb.12:
	v_add_nc_u32_e32 v8, 0x400, v0
	v_add_nc_u32_e32 v31, 0x600, v0
	ds_read2_b32 v[6:7], v0 offset0:60 offset1:160
	ds_read2_b32 v[23:24], v8 offset0:4 offset1:104
	;; [unrolled: 1-line block ×3, first 2 shown]
.LBB0_13:
	s_or_b32 exec_lo, exec_lo, s1
	v_add_f32_e32 v8, v20, v9
	v_add_f32_e32 v42, v28, v30
	;; [unrolled: 1-line block ×3, first 2 shown]
	v_sub_f32_e32 v27, v29, v27
	v_sub_f32_e32 v19, v19, v25
	v_add_f32_e32 v8, v30, v8
	v_fma_f32 v42, -0.5, v42, v9
	v_fmac_f32_e32 v9, -0.5, v43
	v_sub_f32_e32 v25, v20, v30
	v_sub_f32_e32 v44, v26, v28
	v_add_f32_e32 v8, v28, v8
	v_sub_f32_e32 v20, v30, v20
	v_fmamk_f32 v43, v27, 0xbf737871, v9
	v_fmac_f32_e32 v9, 0x3f737871, v27
	v_add_f32_e32 v11, v16, v11
	v_add_f32_e32 v8, v26, v8
	v_sub_f32_e32 v26, v28, v26
	v_fmamk_f32 v29, v19, 0x3f737871, v42
	v_fmac_f32_e32 v43, 0x3f167918, v19
	v_fmac_f32_e32 v9, 0xbf167918, v19
	v_add_f32_e32 v11, v22, v11
	v_add_f32_e32 v16, v26, v20
	v_fmac_f32_e32 v42, 0xbf737871, v19
	v_add_f32_e32 v25, v44, v25
	v_fmac_f32_e32 v29, 0x3f167918, v27
	;; [unrolled: 2-line block ×3, first 2 shown]
	v_fmac_f32_e32 v9, 0x3e9e377a, v16
	v_mul_f32_e32 v20, 0x3f167918, v38
	v_mul_f32_e32 v22, 0x3f737871, v40
	;; [unrolled: 1-line block ×3, first 2 shown]
	v_fmac_f32_e32 v42, 0xbf167918, v27
	v_mul_f32_e32 v18, 0x3f4f1bbd, v39
	v_fmac_f32_e32 v29, 0x3e9e377a, v25
	v_add_f32_e32 v11, v14, v11
	v_fmac_f32_e32 v20, 0x3f4f1bbd, v15
	v_fmac_f32_e32 v22, 0x3e9e377a, v17
	v_fma_f32 v21, 0x3f737871, v10, -v16
	v_fmac_f32_e32 v42, 0x3e9e377a, v25
	v_fma_f32 v25, 0x3f167918, v37, -v18
	v_add_f32_e32 v14, v11, v8
	v_add_f32_e32 v15, v29, v20
	v_add_f32_e32 v16, v43, v22
	v_add_f32_e32 v17, v9, v21
	v_add_f32_e32 v18, v42, v25
	v_sub_f32_e32 v19, v8, v11
	v_sub_f32_e32 v10, v29, v20
	;; [unrolled: 1-line block ×5, first 2 shown]
	s_waitcnt lgkmcnt(0)
	s_barrier
	buffer_gl0_inv
	ds_write2_b64 v41, v[14:15], v[16:17] offset1:1
	ds_write2_b64 v41, v[18:19], v[10:11] offset0:2 offset1:3
	ds_write_b64 v41, v[8:9] offset:32
	v_add_nc_u32_e32 v14, 0x200, v0
	v_add_nc_u32_e32 v17, 0x400, v0
	s_waitcnt lgkmcnt(0)
	s_barrier
	buffer_gl0_inv
	ds_read2_b32 v[15:16], v0 offset1:100
	ds_read2_b32 v[21:22], v14 offset0:72 offset1:172
	ds_read2_b32 v[19:20], v17 offset0:144 offset1:244
                                        ; implicit-def: $vgpr18
	s_and_saveexec_b32 s1, s0
	s_cbranch_execz .LBB0_15
; %bb.14:
	v_add_nc_u32_e32 v8, 0x400, v0
	v_add_nc_u32_e32 v14, 0x600, v0
	ds_read2_b32 v[10:11], v0 offset0:60 offset1:160
	ds_read2_b32 v[8:9], v8 offset0:4 offset1:104
	;; [unrolled: 1-line block ×3, first 2 shown]
.LBB0_15:
	s_or_b32 exec_lo, exec_lo, s1
	v_and_b32_e32 v14, 0xff, v5
	v_add_nc_u16 v26, v5, 60
	v_mov_b32_e32 v27, 5
	v_mov_b32_e32 v38, 0xf0
	;; [unrolled: 1-line block ×3, first 2 shown]
	v_mul_lo_u16 v14, 0xcd, v14
	v_and_b32_e32 v28, 0xff, v26
	v_lshrrev_b16 v14, 11, v14
	v_mul_lo_u16 v25, v14, 10
	v_mul_u32_u24_sdwa v14, v14, v38 dst_sel:DWORD dst_unused:UNUSED_PAD src0_sel:WORD_0 src1_sel:DWORD
	v_sub_nc_u16 v37, v5, v25
	v_mul_lo_u16 v25, 0xcd, v28
	v_mul_u32_u24_sdwa v28, v37, v27 dst_sel:DWORD dst_unused:UNUSED_PAD src0_sel:BYTE_0 src1_sel:DWORD
	v_lshrrev_b16 v25, 11, v25
	v_lshlrev_b32_e32 v28, 3, v28
	v_mul_lo_u16 v29, v25, 10
	s_clause 0x1
	global_load_dwordx4 v[40:43], v28, s[8:9]
	global_load_dwordx4 v[44:47], v28, s[8:9] offset:16
	v_sub_nc_u16 v26, v26, v29
	global_load_dwordx2 v[29:30], v28, s[8:9] offset:32
	v_mul_u32_u24_sdwa v27, v26, v27 dst_sel:DWORD dst_unused:UNUSED_PAD src0_sel:BYTE_0 src1_sel:DWORD
	v_lshlrev_b32_e32 v27, 3, v27
	s_clause 0x2
	global_load_dwordx4 v[48:51], v27, s[8:9]
	global_load_dwordx4 v[52:55], v27, s[8:9] offset:16
	global_load_dwordx2 v[56:57], v27, s[8:9] offset:32
	v_lshlrev_b32_sdwa v27, v39, v37 dst_sel:DWORD dst_unused:UNUSED_PAD src0_sel:DWORD src1_sel:BYTE_0
	s_waitcnt vmcnt(0) lgkmcnt(0)
	s_barrier
	buffer_gl0_inv
	v_add3_u32 v27, 0, v14, v27
	v_mul_f32_e32 v28, v16, v41
	v_mul_f32_e32 v41, v13, v41
	;; [unrolled: 1-line block ×7, first 2 shown]
	v_fmac_f32_e32 v28, v13, v40
	v_fma_f32 v13, v16, v40, -v41
	v_fma_f32 v40, v21, v42, -v43
	v_mul_f32_e32 v21, v34, v30
	v_mul_f32_e32 v47, v33, v47
	;; [unrolled: 1-line block ×3, first 2 shown]
	v_fmac_f32_e32 v14, v35, v42
	v_fma_f32 v16, v22, v44, -v45
	v_fmac_f32_e32 v37, v33, v46
	v_fma_f32 v33, v20, v29, -v21
	v_mul_f32_e32 v41, v11, v49
	v_mul_f32_e32 v43, v9, v53
	v_fmac_f32_e32 v58, v36, v44
	v_fma_f32 v35, v19, v46, -v47
	v_fmac_f32_e32 v59, v34, v29
	v_mul_f32_e32 v19, v7, v49
	v_mul_f32_e32 v20, v23, v51
	;; [unrolled: 1-line block ×6, first 2 shown]
	v_fmac_f32_e32 v41, v7, v48
	v_fmac_f32_e32 v43, v24, v52
	v_add_f32_e32 v7, v12, v14
	v_add_f32_e32 v24, v16, v33
	v_mul_f32_e32 v21, v8, v51
	v_mul_f32_e32 v44, v32, v57
	v_fma_f32 v30, v8, v50, -v20
	v_fmac_f32_e32 v22, v31, v54
	v_fma_f32 v20, v17, v54, -v36
	v_fmac_f32_e32 v42, v32, v56
	v_add_f32_e32 v8, v14, v37
	v_add_f32_e32 v17, v58, v59
	v_sub_f32_e32 v31, v58, v59
	v_add_f32_e32 v32, v7, v37
	v_fma_f32 v7, -0.5, v24, v13
	v_fma_f32 v29, v11, v48, -v19
	v_fmac_f32_e32 v21, v23, v50
	v_fma_f32 v23, v9, v52, -v34
	v_fma_f32 v19, v18, v56, -v44
	v_add_f32_e32 v11, v28, v58
	v_sub_f32_e32 v18, v16, v33
	v_fmac_f32_e32 v12, -0.5, v8
	v_fmac_f32_e32 v28, -0.5, v17
	v_fmamk_f32 v8, v31, 0x3f5db3d7, v7
	v_fmac_f32_e32 v7, 0xbf5db3d7, v31
	v_sub_f32_e32 v9, v40, v35
	v_add_f32_e32 v11, v11, v59
	v_add_f32_e32 v17, v43, v42
	;; [unrolled: 1-line block ×3, first 2 shown]
	v_fmamk_f32 v36, v18, 0xbf5db3d7, v28
	v_fmac_f32_e32 v28, 0x3f5db3d7, v18
	v_mul_f32_e32 v18, 0xbf5db3d7, v8
	v_mul_f32_e32 v47, 0xbf5db3d7, v7
	v_sub_f32_e32 v34, v23, v19
	v_sub_f32_e32 v45, v43, v42
	v_fmamk_f32 v46, v9, 0xbf5db3d7, v12
	v_fmac_f32_e32 v12, 0x3f5db3d7, v9
	v_add_f32_e32 v9, v32, v11
	v_fma_f32 v24, -0.5, v17, v41
	v_sub_f32_e32 v11, v32, v11
	v_fma_f32 v32, -0.5, v44, v29
	v_fmac_f32_e32 v18, 0.5, v36
	v_fmac_f32_e32 v47, -0.5, v28
	v_fmamk_f32 v31, v34, 0xbf5db3d7, v24
	v_fmac_f32_e32 v24, 0x3f5db3d7, v34
	v_fmamk_f32 v34, v45, 0x3f5db3d7, v32
	v_add_f32_e32 v17, v46, v18
	v_fmac_f32_e32 v32, 0xbf5db3d7, v45
	v_add_f32_e32 v44, v12, v47
	v_sub_f32_e32 v18, v46, v18
	v_sub_f32_e32 v12, v12, v47
	ds_write2_b32 v27, v9, v17 offset1:10
	ds_write2_b32 v27, v44, v11 offset0:20 offset1:30
	ds_write2_b32 v27, v18, v12 offset0:40 offset1:50
	s_and_saveexec_b32 s1, s0
	s_cbranch_execz .LBB0_17
; %bb.16:
	v_add_f32_e32 v9, v21, v22
	v_sub_f32_e32 v11, v30, v20
	v_mul_f32_e32 v17, 0xbf5db3d7, v34
	v_add_f32_e32 v18, v6, v21
	v_mul_f32_e32 v12, 0xbf5db3d7, v32
	v_fma_f32 v6, -0.5, v9, v6
	v_add_f32_e32 v9, v41, v43
	v_fmac_f32_e32 v17, 0.5, v31
	v_add_f32_e32 v18, v18, v22
	v_fmac_f32_e32 v12, -0.5, v24
	v_fmamk_f32 v41, v11, 0x3f5db3d7, v6
	v_add_f32_e32 v9, v9, v42
	v_fmac_f32_e32 v6, 0xbf5db3d7, v11
	v_mul_u32_u24_sdwa v11, v25, v38 dst_sel:DWORD dst_unused:UNUSED_PAD src0_sel:WORD_0 src1_sel:DWORD
	v_lshlrev_b32_sdwa v38, v39, v26 dst_sel:DWORD dst_unused:UNUSED_PAD src0_sel:DWORD src1_sel:BYTE_0
	v_sub_f32_e32 v39, v41, v12
	v_sub_f32_e32 v42, v18, v9
	v_add_f32_e32 v43, v6, v17
	v_add_f32_e32 v9, v18, v9
	v_add3_u32 v11, 0, v11, v38
	v_add_f32_e32 v12, v41, v12
	v_sub_f32_e32 v6, v6, v17
	ds_write2_b32 v11, v9, v43 offset1:10
	ds_write2_b32 v11, v12, v42 offset0:20 offset1:30
	ds_write2_b32 v11, v6, v39 offset0:40 offset1:50
.LBB0_17:
	s_or_b32 exec_lo, exec_lo, s1
	v_add_f32_e32 v6, v15, v40
	v_add_f32_e32 v9, v40, v35
	;; [unrolled: 1-line block ×3, first 2 shown]
	v_add_nc_u32_e32 v13, 0x400, v0
	v_lshl_add_u32 v18, v5, 2, 0
	v_sub_f32_e32 v37, v14, v37
	v_add_f32_e32 v35, v6, v35
	v_fmac_f32_e32 v15, -0.5, v9
	v_mul_f32_e32 v39, 0.5, v8
	v_mul_f32_e32 v40, -0.5, v7
	s_waitcnt lgkmcnt(0)
	s_barrier
	buffer_gl0_inv
	ds_read2_b32 v[6:7], v0 offset1:120
	ds_read2_b32 v[8:9], v0 offset0:180 offset1:240
	ds_read2_b32 v[11:12], v13 offset0:44 offset1:104
	;; [unrolled: 1-line block ×3, first 2 shown]
	ds_read_b32 v16, v18 offset:240
	ds_read_b32 v17, v0 offset:2160
	v_fmamk_f32 v41, v37, 0x3f5db3d7, v15
	v_add_f32_e32 v33, v38, v33
	v_fmac_f32_e32 v39, 0x3f5db3d7, v36
	v_fmac_f32_e32 v15, 0xbf5db3d7, v37
	;; [unrolled: 1-line block ×3, first 2 shown]
	s_waitcnt lgkmcnt(0)
	v_add_f32_e32 v28, v35, v33
	v_add_f32_e32 v36, v41, v39
	v_sub_f32_e32 v33, v35, v33
	v_add_f32_e32 v37, v15, v40
	v_sub_f32_e32 v35, v41, v39
	v_sub_f32_e32 v15, v15, v40
	s_barrier
	buffer_gl0_inv
	ds_write2_b32 v27, v28, v36 offset1:10
	ds_write2_b32 v27, v37, v33 offset0:20 offset1:30
	ds_write2_b32 v27, v35, v15 offset0:40 offset1:50
	s_and_saveexec_b32 s1, s0
	s_cbranch_execz .LBB0_19
; %bb.18:
	v_add_f32_e32 v15, v30, v20
	v_add_f32_e32 v27, v10, v30
	v_sub_f32_e32 v21, v21, v22
	v_add_f32_e32 v22, v29, v23
	v_mov_b32_e32 v28, 0xf0
	v_fmac_f32_e32 v10, -0.5, v15
	v_mul_f32_e32 v15, 0.5, v34
	v_add_f32_e32 v20, v27, v20
	v_mul_f32_e32 v23, -0.5, v32
	v_add_f32_e32 v19, v22, v19
	v_fmamk_f32 v27, v21, 0x3f5db3d7, v10
	v_fmamk_f32 v10, v21, 0xbf5db3d7, v10
	v_mov_b32_e32 v21, 2
	v_fmac_f32_e32 v15, 0x3f5db3d7, v31
	v_mul_u32_u24_sdwa v22, v25, v28 dst_sel:DWORD dst_unused:UNUSED_PAD src0_sel:WORD_0 src1_sel:DWORD
	v_fmac_f32_e32 v23, 0x3f5db3d7, v24
	v_add_f32_e32 v24, v20, v19
	v_lshlrev_b32_sdwa v21, v21, v26 dst_sel:DWORD dst_unused:UNUSED_PAD src0_sel:DWORD src1_sel:BYTE_0
	v_add_f32_e32 v25, v27, v15
	v_sub_f32_e32 v19, v20, v19
	v_add_f32_e32 v26, v10, v23
	v_sub_f32_e32 v15, v27, v15
	v_add3_u32 v20, 0, v22, v21
	v_sub_f32_e32 v10, v10, v23
	ds_write2_b32 v20, v24, v25 offset1:10
	ds_write2_b32 v20, v26, v19 offset0:20 offset1:30
	ds_write2_b32 v20, v15, v10 offset0:40 offset1:50
.LBB0_19:
	s_or_b32 exec_lo, exec_lo, s1
	s_waitcnt lgkmcnt(0)
	s_barrier
	buffer_gl0_inv
	s_and_saveexec_b32 s0, vcc_lo
	s_cbranch_execz .LBB0_21
; %bb.20:
	v_mul_u32_u24_e32 v5, 9, v5
	v_lshlrev_b64 v[3:4], 3, v[3:4]
	v_add_co_u32 v15, vcc_lo, s2, v1
	v_add_co_ci_u32_e32 v43, vcc_lo, s3, v2, vcc_lo
	v_lshlrev_b32_e32 v5, 3, v5
	v_add_co_u32 v2, vcc_lo, v15, v3
	v_add_co_ci_u32_e32 v3, vcc_lo, v43, v4, vcc_lo
	s_clause 0x4
	global_load_dwordx4 v[19:22], v5, s[8:9] offset:400
	global_load_dwordx4 v[23:26], v5, s[8:9] offset:416
	;; [unrolled: 1-line block ×4, first 2 shown]
	global_load_dwordx2 v[35:36], v5, s[8:9] offset:464
	ds_read2_b32 v[37:38], v0 offset1:120
	ds_read2_b32 v[39:40], v0 offset0:180 offset1:240
	v_add_nc_u32_e32 v5, 0x400, v0
	ds_read_b32 v10, v0 offset:2160
	ds_read2_b32 v[0:1], v5 offset0:164 offset1:224
	ds_read2_b32 v[41:42], v5 offset0:44 offset1:104
	ds_read_b32 v15, v18 offset:240
	v_add_co_u32 v4, vcc_lo, 0x800, v2
	v_add_co_ci_u32_e32 v5, vcc_lo, 0, v3, vcc_lo
	v_add_co_u32 v43, vcc_lo, 0x1000, v2
	v_add_co_ci_u32_e32 v44, vcc_lo, 0, v3, vcc_lo
	s_waitcnt vmcnt(4)
	v_mul_f32_e32 v18, v7, v22
	s_waitcnt vmcnt(3)
	v_mul_f32_e32 v45, v9, v26
	;; [unrolled: 2-line block ×4, first 2 shown]
	s_waitcnt lgkmcnt(4)
	v_mul_f32_e32 v26, v40, v26
	v_mul_f32_e32 v48, v8, v23
	;; [unrolled: 1-line block ×3, first 2 shown]
	s_waitcnt vmcnt(0)
	v_mul_f32_e32 v50, v17, v35
	v_mul_f32_e32 v51, v13, v27
	;; [unrolled: 1-line block ×7, first 2 shown]
	s_waitcnt lgkmcnt(2)
	v_mul_f32_e32 v30, v1, v30
	s_waitcnt lgkmcnt(1)
	v_mul_f32_e32 v34, v42, v34
	v_mul_f32_e32 v52, v16, v19
	;; [unrolled: 1-line block ×3, first 2 shown]
	v_fma_f32 v18, v38, v21, -v18
	v_fma_f32 v38, v40, v25, -v45
	;; [unrolled: 1-line block ×4, first 2 shown]
	v_fmac_f32_e32 v26, v9, v25
	v_fmac_f32_e32 v48, v39, v24
	;; [unrolled: 1-line block ×5, first 2 shown]
	v_fma_f32 v9, v41, v31, -v11
	v_fma_f32 v0, v0, v27, -v13
	v_fmac_f32_e32 v22, v7, v21
	v_fma_f32 v7, v39, v23, -v8
	v_fma_f32 v8, v10, v35, -v17
	v_fmac_f32_e32 v34, v12, v33
	s_waitcnt lgkmcnt(0)
	v_fmac_f32_e32 v52, v15, v20
	v_fma_f32 v10, v15, v19, -v16
	v_sub_f32_e32 v11, v18, v38
	v_sub_f32_e32 v12, v1, v40
	v_add_f32_e32 v13, v38, v40
	v_sub_f32_e32 v16, v48, v49
	v_sub_f32_e32 v17, v50, v51
	v_add_f32_e32 v19, v49, v51
	v_add_f32_e32 v25, v9, v0
	v_add_f32_e32 v42, v7, v8
	v_fmac_f32_e32 v30, v14, v29
	v_sub_f32_e32 v23, v7, v9
	v_sub_f32_e32 v24, v8, v0
	;; [unrolled: 1-line block ×3, first 2 shown]
	v_add_f32_e32 v32, v18, v1
	v_add_f32_e32 v45, v18, v37
	;; [unrolled: 1-line block ×3, first 2 shown]
	v_fma_f32 v12, -0.5, v13, v37
	v_add_f32_e32 v13, v16, v17
	v_fma_f32 v16, -0.5, v19, v52
	v_fma_f32 v19, -0.5, v25, v10
	v_sub_f32_e32 v20, v7, v8
	v_sub_f32_e32 v28, v49, v51
	;; [unrolled: 1-line block ×4, first 2 shown]
	v_add_f32_e32 v36, v48, v50
	v_sub_f32_e32 v39, v9, v7
	v_add_f32_e32 v7, v7, v10
	v_fma_f32 v10, -0.5, v42, v10
	v_sub_f32_e32 v33, v49, v48
	v_sub_f32_e32 v35, v51, v50
	v_add_f32_e32 v53, v26, v34
	v_sub_f32_e32 v54, v38, v40
	v_add_f32_e32 v57, v22, v30
	v_add_f32_e32 v17, v23, v24
	v_fma_f32 v24, -0.5, v32, v37
	v_add_f32_e32 v32, v38, v45
	v_fmamk_f32 v38, v27, 0xbf737871, v19
	v_fmac_f32_e32 v19, 0x3f737871, v27
	v_sub_f32_e32 v21, v9, v0
	v_sub_f32_e32 v41, v0, v8
	v_add_f32_e32 v23, v29, v31
	v_fma_f32 v29, -0.5, v36, v52
	v_fmamk_f32 v42, v28, 0x3f737871, v10
	v_fmac_f32_e32 v10, 0xbf737871, v28
	v_sub_f32_e32 v14, v22, v30
	v_sub_f32_e32 v15, v26, v34
	;; [unrolled: 1-line block ×4, first 2 shown]
	v_add_f32_e32 v22, v6, v22
	v_add_f32_e32 v48, v48, v52
	;; [unrolled: 1-line block ×3, first 2 shown]
	v_sub_f32_e32 v18, v18, v1
	v_add_f32_e32 v25, v33, v35
	v_fma_f32 v33, -0.5, v53, v6
	v_fma_f32 v36, -0.5, v57, v6
	v_fmamk_f32 v37, v20, 0x3f737871, v16
	v_fmac_f32_e32 v16, 0xbf737871, v20
	v_fmac_f32_e32 v19, 0x3f167918, v28
	v_add_f32_e32 v31, v39, v41
	v_fmamk_f32 v41, v21, 0xbf737871, v29
	v_fmac_f32_e32 v29, 0x3f737871, v21
	v_fmac_f32_e32 v10, 0x3f167918, v27
	v_add_f32_e32 v6, v22, v26
	v_add_f32_e32 v22, v49, v48
	v_fmamk_f32 v39, v15, 0x3f737871, v24
	v_fmac_f32_e32 v24, 0xbf737871, v15
	v_add_f32_e32 v32, v40, v32
	v_add_f32_e32 v0, v0, v7
	v_fmac_f32_e32 v42, 0xbf167918, v27
	v_fmac_f32_e32 v38, 0xbf167918, v28
	v_sub_f32_e32 v47, v30, v34
	v_fmamk_f32 v26, v14, 0xbf737871, v12
	v_fmac_f32_e32 v12, 0x3f737871, v14
	v_fmamk_f32 v40, v18, 0x3f737871, v33
	v_fmamk_f32 v45, v54, 0xbf737871, v36
	v_fmac_f32_e32 v36, 0x3f737871, v54
	v_fmac_f32_e32 v33, 0xbf737871, v18
	;; [unrolled: 1-line block ×4, first 2 shown]
	v_sub_f32_e32 v56, v34, v30
	v_fmac_f32_e32 v29, 0xbf167918, v20
	v_fmac_f32_e32 v10, 0x3e9e377a, v31
	v_add_f32_e32 v6, v6, v34
	v_add_f32_e32 v7, v51, v22
	v_fmac_f32_e32 v39, 0xbf167918, v14
	v_fmac_f32_e32 v41, 0x3f167918, v20
	;; [unrolled: 1-line block ×3, first 2 shown]
	v_add_f32_e32 v14, v1, v32
	v_add_f32_e32 v8, v8, v0
	v_fmac_f32_e32 v42, 0x3e9e377a, v31
	v_fmac_f32_e32 v37, 0x3f167918, v21
	;; [unrolled: 1-line block ×3, first 2 shown]
	v_add_f32_e32 v9, v46, v47
	v_fmac_f32_e32 v12, 0x3f167918, v15
	v_fmac_f32_e32 v45, 0x3f167918, v18
	;; [unrolled: 1-line block ×5, first 2 shown]
	v_mul_f32_e32 v18, 0x3f4f1bbd, v19
	v_mul_f32_e32 v22, 0xbf167918, v19
	v_add_f32_e32 v35, v55, v56
	v_fmac_f32_e32 v29, 0x3e9e377a, v25
	v_mul_f32_e32 v17, 0x3e9e377a, v10
	v_mul_f32_e32 v10, 0xbf737871, v10
	v_fmac_f32_e32 v26, 0xbf167918, v15
	v_add_f32_e32 v6, v30, v6
	v_add_f32_e32 v15, v50, v7
	v_fmac_f32_e32 v41, 0x3e9e377a, v25
	v_sub_f32_e32 v1, v14, v8
	v_add_f32_e32 v7, v14, v8
	v_mul_f32_e32 v14, 0xbe9e377a, v42
	v_mul_f32_e32 v21, 0xbf737871, v42
	v_fmac_f32_e32 v40, 0x3f167918, v54
	v_fmac_f32_e32 v37, 0x3e9e377a, v13
	v_mul_f32_e32 v13, 0xbf4f1bbd, v38
	v_mul_f32_e32 v20, 0xbf167918, v38
	v_fmac_f32_e32 v12, 0x3e9e377a, v11
	v_fmac_f32_e32 v33, 0x3e9e377a, v9
	;; [unrolled: 1-line block ×10, first 2 shown]
	v_sub_f32_e32 v0, v6, v15
	v_add_f32_e32 v6, v6, v15
	v_fmac_f32_e32 v14, 0x3f737871, v41
	v_fmac_f32_e32 v21, 0xbe9e377a, v41
	;; [unrolled: 1-line block ×6, first 2 shown]
	v_sub_f32_e32 v11, v12, v18
	v_add_f32_e32 v19, v12, v18
	v_add_f32_e32 v18, v33, v22
	v_sub_f32_e32 v9, v24, v17
	v_add_f32_e32 v17, v24, v17
	v_add_f32_e32 v16, v36, v10
	global_store_dwordx2 v[2:3], v[6:7], off
	global_store_dwordx2 v[4:5], v[0:1], off offset:352
	v_sub_f32_e32 v7, v39, v14
	v_add_f32_e32 v15, v39, v14
	v_add_f32_e32 v14, v45, v21
	v_sub_f32_e32 v1, v26, v13
	v_add_f32_e32 v13, v26, v13
	v_add_f32_e32 v12, v40, v20
	v_sub_f32_e32 v8, v36, v10
	v_sub_f32_e32 v10, v33, v22
	;; [unrolled: 1-line block ×4, first 2 shown]
	global_store_dwordx2 v[2:3], v[18:19], off offset:480
	global_store_dwordx2 v[2:3], v[16:17], off offset:960
	;; [unrolled: 1-line block ×8, first 2 shown]
.LBB0_21:
	s_endpgm
	.section	.rodata,"a",@progbits
	.p2align	6, 0x0
	.amdhsa_kernel fft_rtc_back_len600_factors_10_6_10_wgs_60_tpt_60_halfLds_sp_ip_CI_unitstride_sbrr_dirReg
		.amdhsa_group_segment_fixed_size 0
		.amdhsa_private_segment_fixed_size 0
		.amdhsa_kernarg_size 88
		.amdhsa_user_sgpr_count 6
		.amdhsa_user_sgpr_private_segment_buffer 1
		.amdhsa_user_sgpr_dispatch_ptr 0
		.amdhsa_user_sgpr_queue_ptr 0
		.amdhsa_user_sgpr_kernarg_segment_ptr 1
		.amdhsa_user_sgpr_dispatch_id 0
		.amdhsa_user_sgpr_flat_scratch_init 0
		.amdhsa_user_sgpr_private_segment_size 0
		.amdhsa_wavefront_size32 1
		.amdhsa_uses_dynamic_stack 0
		.amdhsa_system_sgpr_private_segment_wavefront_offset 0
		.amdhsa_system_sgpr_workgroup_id_x 1
		.amdhsa_system_sgpr_workgroup_id_y 0
		.amdhsa_system_sgpr_workgroup_id_z 0
		.amdhsa_system_sgpr_workgroup_info 0
		.amdhsa_system_vgpr_workitem_id 0
		.amdhsa_next_free_vgpr 60
		.amdhsa_next_free_sgpr 21
		.amdhsa_reserve_vcc 1
		.amdhsa_reserve_flat_scratch 0
		.amdhsa_float_round_mode_32 0
		.amdhsa_float_round_mode_16_64 0
		.amdhsa_float_denorm_mode_32 3
		.amdhsa_float_denorm_mode_16_64 3
		.amdhsa_dx10_clamp 1
		.amdhsa_ieee_mode 1
		.amdhsa_fp16_overflow 0
		.amdhsa_workgroup_processor_mode 1
		.amdhsa_memory_ordered 1
		.amdhsa_forward_progress 0
		.amdhsa_shared_vgpr_count 0
		.amdhsa_exception_fp_ieee_invalid_op 0
		.amdhsa_exception_fp_denorm_src 0
		.amdhsa_exception_fp_ieee_div_zero 0
		.amdhsa_exception_fp_ieee_overflow 0
		.amdhsa_exception_fp_ieee_underflow 0
		.amdhsa_exception_fp_ieee_inexact 0
		.amdhsa_exception_int_div_zero 0
	.end_amdhsa_kernel
	.text
.Lfunc_end0:
	.size	fft_rtc_back_len600_factors_10_6_10_wgs_60_tpt_60_halfLds_sp_ip_CI_unitstride_sbrr_dirReg, .Lfunc_end0-fft_rtc_back_len600_factors_10_6_10_wgs_60_tpt_60_halfLds_sp_ip_CI_unitstride_sbrr_dirReg
                                        ; -- End function
	.section	.AMDGPU.csdata,"",@progbits
; Kernel info:
; codeLenInByte = 5128
; NumSgprs: 23
; NumVgprs: 60
; ScratchSize: 0
; MemoryBound: 0
; FloatMode: 240
; IeeeMode: 1
; LDSByteSize: 0 bytes/workgroup (compile time only)
; SGPRBlocks: 2
; VGPRBlocks: 7
; NumSGPRsForWavesPerEU: 23
; NumVGPRsForWavesPerEU: 60
; Occupancy: 16
; WaveLimiterHint : 1
; COMPUTE_PGM_RSRC2:SCRATCH_EN: 0
; COMPUTE_PGM_RSRC2:USER_SGPR: 6
; COMPUTE_PGM_RSRC2:TRAP_HANDLER: 0
; COMPUTE_PGM_RSRC2:TGID_X_EN: 1
; COMPUTE_PGM_RSRC2:TGID_Y_EN: 0
; COMPUTE_PGM_RSRC2:TGID_Z_EN: 0
; COMPUTE_PGM_RSRC2:TIDIG_COMP_CNT: 0
	.text
	.p2alignl 6, 3214868480
	.fill 48, 4, 3214868480
	.type	__hip_cuid_82e512a434a25592,@object ; @__hip_cuid_82e512a434a25592
	.section	.bss,"aw",@nobits
	.globl	__hip_cuid_82e512a434a25592
__hip_cuid_82e512a434a25592:
	.byte	0                               ; 0x0
	.size	__hip_cuid_82e512a434a25592, 1

	.ident	"AMD clang version 19.0.0git (https://github.com/RadeonOpenCompute/llvm-project roc-6.4.0 25133 c7fe45cf4b819c5991fe208aaa96edf142730f1d)"
	.section	".note.GNU-stack","",@progbits
	.addrsig
	.addrsig_sym __hip_cuid_82e512a434a25592
	.amdgpu_metadata
---
amdhsa.kernels:
  - .args:
      - .actual_access:  read_only
        .address_space:  global
        .offset:         0
        .size:           8
        .value_kind:     global_buffer
      - .offset:         8
        .size:           8
        .value_kind:     by_value
      - .actual_access:  read_only
        .address_space:  global
        .offset:         16
        .size:           8
        .value_kind:     global_buffer
      - .actual_access:  read_only
        .address_space:  global
        .offset:         24
        .size:           8
        .value_kind:     global_buffer
      - .offset:         32
        .size:           8
        .value_kind:     by_value
      - .actual_access:  read_only
        .address_space:  global
        .offset:         40
        .size:           8
        .value_kind:     global_buffer
      - .actual_access:  read_only
        .address_space:  global
        .offset:         48
        .size:           8
        .value_kind:     global_buffer
      - .offset:         56
        .size:           4
        .value_kind:     by_value
      - .actual_access:  read_only
        .address_space:  global
        .offset:         64
        .size:           8
        .value_kind:     global_buffer
      - .actual_access:  read_only
        .address_space:  global
        .offset:         72
        .size:           8
        .value_kind:     global_buffer
      - .address_space:  global
        .offset:         80
        .size:           8
        .value_kind:     global_buffer
    .group_segment_fixed_size: 0
    .kernarg_segment_align: 8
    .kernarg_segment_size: 88
    .language:       OpenCL C
    .language_version:
      - 2
      - 0
    .max_flat_workgroup_size: 60
    .name:           fft_rtc_back_len600_factors_10_6_10_wgs_60_tpt_60_halfLds_sp_ip_CI_unitstride_sbrr_dirReg
    .private_segment_fixed_size: 0
    .sgpr_count:     23
    .sgpr_spill_count: 0
    .symbol:         fft_rtc_back_len600_factors_10_6_10_wgs_60_tpt_60_halfLds_sp_ip_CI_unitstride_sbrr_dirReg.kd
    .uniform_work_group_size: 1
    .uses_dynamic_stack: false
    .vgpr_count:     60
    .vgpr_spill_count: 0
    .wavefront_size: 32
    .workgroup_processor_mode: 1
amdhsa.target:   amdgcn-amd-amdhsa--gfx1030
amdhsa.version:
  - 1
  - 2
...

	.end_amdgpu_metadata
